;; amdgpu-corpus repo=ROCm/rocFFT kind=compiled arch=gfx950 opt=O3
	.text
	.amdgcn_target "amdgcn-amd-amdhsa--gfx950"
	.amdhsa_code_object_version 6
	.protected	fft_rtc_back_len90_factors_3_3_10_wgs_63_tpt_9_halfLds_sp_ip_CI_unitstride_sbrr_dirReg ; -- Begin function fft_rtc_back_len90_factors_3_3_10_wgs_63_tpt_9_halfLds_sp_ip_CI_unitstride_sbrr_dirReg
	.globl	fft_rtc_back_len90_factors_3_3_10_wgs_63_tpt_9_halfLds_sp_ip_CI_unitstride_sbrr_dirReg
	.p2align	8
	.type	fft_rtc_back_len90_factors_3_3_10_wgs_63_tpt_9_halfLds_sp_ip_CI_unitstride_sbrr_dirReg,@function
fft_rtc_back_len90_factors_3_3_10_wgs_63_tpt_9_halfLds_sp_ip_CI_unitstride_sbrr_dirReg: ; @fft_rtc_back_len90_factors_3_3_10_wgs_63_tpt_9_halfLds_sp_ip_CI_unitstride_sbrr_dirReg
; %bb.0:
	s_load_dwordx2 s[8:9], s[0:1], 0x50
	s_load_dwordx4 s[4:7], s[0:1], 0x0
	s_load_dwordx2 s[10:11], s[0:1], 0x18
	v_mul_u32_u24_e32 v1, 0x1c72, v0
	v_lshrrev_b32_e32 v2, 16, v1
	v_mad_u64_u32 v[6:7], s[2:3], s2, 7, v[2:3]
	v_mov_b32_e32 v4, 0
	v_mov_b32_e32 v7, v4
	s_waitcnt lgkmcnt(0)
	v_cmp_lt_u64_e64 s[2:3], s[6:7], 2
	s_and_b64 vcc, exec, s[2:3]
	v_mov_b64_e32 v[2:3], 0
	v_mov_b64_e32 v[10:11], v[6:7]
	s_cbranch_vccnz .LBB0_8
; %bb.1:
	s_load_dwordx2 s[2:3], s[0:1], 0x10
	s_add_u32 s12, s10, 8
	s_addc_u32 s13, s11, 0
	s_mov_b64 s[14:15], 1
	v_mov_b64_e32 v[2:3], 0
	s_waitcnt lgkmcnt(0)
	s_add_u32 s16, s2, 8
	s_addc_u32 s17, s3, 0
	v_mov_b64_e32 v[8:9], v[6:7]
.LBB0_2:                                ; =>This Inner Loop Header: Depth=1
	s_load_dwordx2 s[18:19], s[16:17], 0x0
                                        ; implicit-def: $vgpr10_vgpr11
	s_waitcnt lgkmcnt(0)
	v_or_b32_e32 v5, s19, v9
	v_cmp_ne_u64_e32 vcc, 0, v[4:5]
	s_and_saveexec_b64 s[2:3], vcc
	s_xor_b64 s[20:21], exec, s[2:3]
	s_cbranch_execz .LBB0_4
; %bb.3:                                ;   in Loop: Header=BB0_2 Depth=1
	v_cvt_f32_u32_e32 v1, s18
	v_cvt_f32_u32_e32 v5, s19
	s_sub_u32 s2, 0, s18
	s_subb_u32 s3, 0, s19
	v_fmac_f32_e32 v1, 0x4f800000, v5
	v_rcp_f32_e32 v1, v1
	s_nop 0
	v_mul_f32_e32 v1, 0x5f7ffffc, v1
	v_mul_f32_e32 v5, 0x2f800000, v1
	v_trunc_f32_e32 v5, v5
	v_fmac_f32_e32 v1, 0xcf800000, v5
	v_cvt_u32_f32_e32 v5, v5
	v_cvt_u32_f32_e32 v1, v1
	v_mul_lo_u32 v7, s2, v5
	v_mul_hi_u32 v10, s2, v1
	v_mul_lo_u32 v11, s3, v1
	v_add_u32_e32 v7, v10, v7
	v_mul_lo_u32 v14, s2, v1
	v_add_u32_e32 v7, v7, v11
	v_mul_hi_u32 v10, v1, v14
	v_mul_hi_u32 v13, v1, v7
	v_mul_lo_u32 v12, v1, v7
	v_mov_b32_e32 v11, v4
	v_lshl_add_u64 v[10:11], v[10:11], 0, v[12:13]
	v_mul_hi_u32 v13, v5, v14
	v_mul_lo_u32 v14, v5, v14
	v_add_co_u32_e32 v10, vcc, v10, v14
	v_mul_hi_u32 v12, v5, v7
	s_nop 0
	v_addc_co_u32_e32 v10, vcc, v11, v13, vcc
	v_mov_b32_e32 v11, v4
	s_nop 0
	v_addc_co_u32_e32 v13, vcc, 0, v12, vcc
	v_mul_lo_u32 v12, v5, v7
	v_lshl_add_u64 v[10:11], v[10:11], 0, v[12:13]
	v_add_co_u32_e32 v1, vcc, v1, v10
	v_mul_hi_u32 v10, s2, v1
	s_nop 0
	v_addc_co_u32_e32 v5, vcc, v5, v11, vcc
	v_mul_lo_u32 v7, s2, v5
	v_add_u32_e32 v7, v10, v7
	v_mul_lo_u32 v10, s3, v1
	v_add_u32_e32 v7, v7, v10
	v_mul_lo_u32 v12, s2, v1
	v_mul_hi_u32 v15, v5, v12
	v_mul_lo_u32 v16, v5, v12
	v_mul_hi_u32 v11, v1, v7
	;; [unrolled: 2-line block ×3, first 2 shown]
	v_mov_b32_e32 v13, v4
	v_lshl_add_u64 v[10:11], v[12:13], 0, v[10:11]
	v_add_co_u32_e32 v10, vcc, v10, v16
	v_mul_hi_u32 v14, v5, v7
	s_nop 0
	v_addc_co_u32_e32 v10, vcc, v11, v15, vcc
	v_mul_lo_u32 v12, v5, v7
	s_nop 0
	v_addc_co_u32_e32 v13, vcc, 0, v14, vcc
	v_mov_b32_e32 v11, v4
	v_lshl_add_u64 v[10:11], v[10:11], 0, v[12:13]
	v_add_co_u32_e32 v1, vcc, v1, v10
	v_mul_hi_u32 v12, v8, v1
	s_nop 0
	v_addc_co_u32_e32 v5, vcc, v5, v11, vcc
	v_mad_u64_u32 v[10:11], s[2:3], v8, v5, 0
	v_mov_b32_e32 v13, v4
	v_lshl_add_u64 v[10:11], v[12:13], 0, v[10:11]
	v_mad_u64_u32 v[14:15], s[2:3], v9, v1, 0
	v_add_co_u32_e32 v1, vcc, v10, v14
	v_mad_u64_u32 v[12:13], s[2:3], v9, v5, 0
	s_nop 0
	v_addc_co_u32_e32 v10, vcc, v11, v15, vcc
	v_mov_b32_e32 v11, v4
	s_nop 0
	v_addc_co_u32_e32 v13, vcc, 0, v13, vcc
	v_lshl_add_u64 v[10:11], v[10:11], 0, v[12:13]
	v_mul_lo_u32 v1, s19, v10
	v_mul_lo_u32 v5, s18, v11
	v_mad_u64_u32 v[12:13], s[2:3], s18, v10, 0
	v_add3_u32 v1, v13, v5, v1
	v_sub_u32_e32 v5, v9, v1
	v_mov_b32_e32 v7, s19
	v_sub_co_u32_e32 v16, vcc, v8, v12
	v_lshl_add_u64 v[14:15], v[10:11], 0, 1
	s_nop 0
	v_subb_co_u32_e64 v5, s[2:3], v5, v7, vcc
	v_subrev_co_u32_e64 v7, s[2:3], s18, v16
	v_subb_co_u32_e32 v1, vcc, v9, v1, vcc
	s_nop 0
	v_subbrev_co_u32_e64 v5, s[2:3], 0, v5, s[2:3]
	v_cmp_le_u32_e64 s[2:3], s19, v5
	v_cmp_le_u32_e32 vcc, s19, v1
	s_nop 0
	v_cndmask_b32_e64 v12, 0, -1, s[2:3]
	v_cmp_le_u32_e64 s[2:3], s18, v7
	s_nop 1
	v_cndmask_b32_e64 v7, 0, -1, s[2:3]
	v_cmp_eq_u32_e64 s[2:3], s19, v5
	s_nop 1
	v_cndmask_b32_e64 v5, v12, v7, s[2:3]
	v_lshl_add_u64 v[12:13], v[10:11], 0, 2
	v_cmp_ne_u32_e64 s[2:3], 0, v5
	v_cndmask_b32_e64 v7, 0, -1, vcc
	v_cmp_le_u32_e32 vcc, s18, v16
	v_cndmask_b32_e64 v5, v15, v13, s[2:3]
	s_nop 0
	v_cndmask_b32_e64 v13, 0, -1, vcc
	v_cmp_eq_u32_e32 vcc, s19, v1
	s_nop 1
	v_cndmask_b32_e32 v1, v7, v13, vcc
	v_cmp_ne_u32_e32 vcc, 0, v1
	v_cndmask_b32_e64 v1, v14, v12, s[2:3]
	s_nop 0
	v_cndmask_b32_e32 v11, v11, v5, vcc
	v_cndmask_b32_e32 v10, v10, v1, vcc
.LBB0_4:                                ;   in Loop: Header=BB0_2 Depth=1
	s_andn2_saveexec_b64 s[2:3], s[20:21]
	s_cbranch_execz .LBB0_6
; %bb.5:                                ;   in Loop: Header=BB0_2 Depth=1
	v_cvt_f32_u32_e32 v1, s18
	s_sub_i32 s20, 0, s18
	v_mov_b32_e32 v11, v4
	v_rcp_iflag_f32_e32 v1, v1
	s_nop 0
	v_mul_f32_e32 v1, 0x4f7ffffe, v1
	v_cvt_u32_f32_e32 v1, v1
	v_mul_lo_u32 v5, s20, v1
	v_mul_hi_u32 v5, v1, v5
	v_add_u32_e32 v1, v1, v5
	v_mul_hi_u32 v1, v8, v1
	v_mul_lo_u32 v5, v1, s18
	v_sub_u32_e32 v5, v8, v5
	v_add_u32_e32 v7, 1, v1
	v_subrev_u32_e32 v10, s18, v5
	v_cmp_le_u32_e32 vcc, s18, v5
	s_nop 1
	v_cndmask_b32_e32 v5, v5, v10, vcc
	v_cndmask_b32_e32 v1, v1, v7, vcc
	v_add_u32_e32 v7, 1, v1
	v_cmp_le_u32_e32 vcc, s18, v5
	s_nop 1
	v_cndmask_b32_e32 v10, v1, v7, vcc
.LBB0_6:                                ;   in Loop: Header=BB0_2 Depth=1
	s_or_b64 exec, exec, s[2:3]
	v_mad_u64_u32 v[12:13], s[2:3], v10, s18, 0
	s_load_dwordx2 s[2:3], s[12:13], 0x0
	s_add_u32 s14, s14, 1
	v_mul_lo_u32 v1, v11, s18
	v_mul_lo_u32 v5, v10, s19
	s_addc_u32 s15, s15, 0
	v_add3_u32 v1, v13, v5, v1
	v_sub_co_u32_e32 v5, vcc, v8, v12
	s_add_u32 s12, s12, 8
	s_nop 0
	v_subb_co_u32_e32 v1, vcc, v9, v1, vcc
	s_addc_u32 s13, s13, 0
	v_mov_b64_e32 v[8:9], s[6:7]
	s_waitcnt lgkmcnt(0)
	v_mul_lo_u32 v1, s2, v1
	v_mul_lo_u32 v7, s3, v5
	v_mad_u64_u32 v[2:3], s[2:3], s2, v5, v[2:3]
	s_add_u32 s16, s16, 8
	v_cmp_ge_u64_e32 vcc, s[14:15], v[8:9]
	v_add3_u32 v3, v7, v3, v1
	s_addc_u32 s17, s17, 0
	s_cbranch_vccnz .LBB0_8
; %bb.7:                                ;   in Loop: Header=BB0_2 Depth=1
	v_mov_b64_e32 v[8:9], v[10:11]
	s_branch .LBB0_2
.LBB0_8:
	s_lshl_b64 s[2:3], s[6:7], 3
	s_add_u32 s2, s10, s2
	s_addc_u32 s3, s11, s3
	s_load_dwordx2 s[6:7], s[2:3], 0x0
	s_load_dwordx2 s[10:11], s[0:1], 0x20
                                        ; implicit-def: $vgpr14
                                        ; implicit-def: $vgpr12
                                        ; implicit-def: $vgpr18
                                        ; implicit-def: $vgpr26
                                        ; implicit-def: $vgpr24
                                        ; implicit-def: $vgpr30
                                        ; implicit-def: $vgpr32
                                        ; implicit-def: $vgpr28
                                        ; implicit-def: $vgpr16
                                        ; implicit-def: $vgpr22
                                        ; implicit-def: $vgpr20
	s_waitcnt lgkmcnt(0)
	v_mad_u64_u32 v[8:9], s[0:1], s6, v10, v[2:3]
	v_mul_lo_u32 v1, s6, v11
	v_mul_lo_u32 v4, s7, v10
	s_mov_b32 s0, 0x1c71c71d
	v_add3_u32 v9, v4, v9, v1
	v_mul_hi_u32 v1, v0, s0
	v_mul_u32_u24_e32 v1, 9, v1
	v_cmp_gt_u64_e32 vcc, s[10:11], v[10:11]
	v_sub_u32_e32 v4, v0, v1
	v_mov_b32_e32 v2, 0
	v_lshl_add_u64 v[0:1], v[8:9], 3, s[8:9]
                                        ; implicit-def: $vgpr10
	s_and_saveexec_b64 s[2:3], vcc
	s_cbranch_execz .LBB0_12
; %bb.9:
	v_mov_b32_e32 v5, 0
	v_lshl_add_u64 v[2:3], v[4:5], 3, v[0:1]
	global_load_dwordx2 v[28:29], v[2:3], off
	global_load_dwordx2 v[24:25], v[2:3], off offset:72
	global_load_dwordx2 v[26:27], v[2:3], off offset:312
	global_load_dwordx2 v[18:19], v[2:3], off offset:552
	global_load_dwordx2 v[32:33], v[2:3], off offset:240
	global_load_dwordx2 v[12:13], v[2:3], off offset:144
	global_load_dwordx2 v[30:31], v[2:3], off offset:480
	global_load_dwordx2 v[14:15], v[2:3], off offset:384
	global_load_dwordx2 v[10:11], v[2:3], off offset:624
	v_cmp_gt_u32_e64 s[0:1], 3, v4
                                        ; implicit-def: $vgpr21
                                        ; implicit-def: $vgpr23
                                        ; implicit-def: $vgpr17
	s_and_saveexec_b64 s[6:7], s[0:1]
	s_cbranch_execz .LBB0_11
; %bb.10:
	global_load_dwordx2 v[20:21], v[2:3], off offset:216
	global_load_dwordx2 v[22:23], v[2:3], off offset:456
	;; [unrolled: 1-line block ×3, first 2 shown]
.LBB0_11:
	s_or_b64 exec, exec, s[6:7]
	v_mov_b32_e32 v2, v4
.LBB0_12:
	s_or_b64 exec, exec, s[2:3]
	s_mov_b32 s0, 0x24924925
	v_mul_hi_u32 v3, v6, s0
	v_sub_u32_e32 v5, v6, v3
	v_lshrrev_b32_e32 v5, 1, v5
	v_add_u32_e32 v3, v5, v3
	v_lshrrev_b32_e32 v3, 2, v3
	v_mul_lo_u32 v3, v3, 7
	s_waitcnt vmcnt(0)
	v_pk_add_f32 v[44:45], v[16:17], v[22:23]
	v_sub_u32_e32 v3, v6, v3
	v_pk_add_f32 v[56:57], v[30:31], v[32:33]
	v_mul_f32_e32 v34, 0.5, v44
	v_mov_b32_e32 v35, v22
	v_mul_u32_u24_e32 v5, 0x5a, v3
	v_mul_f32_e32 v7, 0.5, v56
	v_pk_add_f32 v[52:53], v[32:33], v[30:31] neg_lo:[0,1] neg_hi:[0,1]
	v_pk_add_f32 v[8:9], v[20:21], v[34:35] op_sel_hi:[0,1] neg_lo:[0,1] neg_hi:[0,1]
	v_pk_add_f32 v[34:35], v[20:21], v[34:35] op_sel_hi:[0,1]
	v_mov_b32_e32 v6, v32
	v_mul_f32_e32 v37, 0x3f5db3d7, v53
	v_pk_add_f32 v[54:55], v[18:19], v[26:27]
	v_mad_u32_u24 v34, v4, 12, 0
	v_lshlrev_b32_e32 v3, 2, v5
	v_pk_add_f32 v[50:51], v[28:29], v[32:33]
	v_pk_add_f32 v[62:63], v[28:29], v[6:7] op_sel_hi:[0,1] neg_lo:[0,1] neg_hi:[0,1]
	v_mov_b32_e32 v36, v30
	v_mul_f32_e32 v39, 0.5, v54
	v_pk_add_f32 v[46:47], v[26:27], v[18:19] neg_lo:[0,1] neg_hi:[0,1]
	v_add_u32_e32 v44, v34, v3
	v_pk_add_f32 v[6:7], v[50:51], v[30:31]
	v_pk_add_f32 v[36:37], v[62:63], v[36:37] neg_lo:[0,1] neg_hi:[0,1]
	v_mov_b32_e32 v38, v26
	v_mul_f32_e32 v41, 0x3f5db3d7, v47
	ds_write2_b32 v44, v6, v37 offset1:1
	v_pk_add_f32 v[6:7], v[24:25], v[26:27]
	v_pk_add_f32 v[36:37], v[24:25], v[38:39] op_sel_hi:[0,1] neg_lo:[0,1] neg_hi:[0,1]
	v_mov_b32_e32 v40, v18
	v_pk_add_f32 v[48:49], v[10:11], v[14:15]
	v_pk_add_f32 v[50:51], v[22:23], v[16:17] neg_lo:[0,1] neg_hi:[0,1]
	v_pk_add_f32 v[6:7], v[6:7], v[18:19]
	v_pk_add_f32 v[38:39], v[36:37], v[40:41] neg_lo:[0,1] neg_hi:[0,1]
	v_mul_f32_e32 v59, 0.5, v48
	v_pk_add_f32 v[42:43], v[14:15], v[10:11] neg_lo:[0,1] neg_hi:[0,1]
	v_mov_b32_e32 v9, v35
	ds_write2_b32 v44, v6, v39 offset0:27 offset1:28
	v_mul_f32_e32 v6, 0x3f5db3d7, v51
	v_mov_b32_e32 v7, v16
	v_fmac_f32_e32 v63, 0x3f5db3d7, v53
	v_fmac_f32_e32 v37, 0x3f5db3d7, v47
	v_mov_b32_e32 v58, v14
	v_mul_f32_e32 v61, 0x3f5db3d7, v43
	v_pk_add_f32 v[6:7], v[6:7], v[8:9]
	ds_write2_b32 v44, v63, v37 offset0:2 offset1:29
	v_add_u32_e32 v9, 0xd8, v34
	v_pk_add_f32 v[36:37], v[12:13], v[14:15]
	v_pk_add_f32 v[38:39], v[12:13], v[58:59] op_sel_hi:[0,1] neg_lo:[0,1] neg_hi:[0,1]
	v_mov_b32_e32 v60, v10
	v_add_u32_e32 v16, v9, v3
	v_pk_add_f32 v[36:37], v[36:37], v[10:11]
	v_pk_add_f32 v[40:41], v[38:39], v[60:61] neg_lo:[0,1] neg_hi:[0,1]
	v_cmp_gt_u32_e64 s[0:1], 3, v4
	v_cmp_lt_u32_e64 s[2:3], 2, v4
	v_fmac_f32_e32 v39, 0x3f5db3d7, v43
	ds_write2_b32 v16, v36, v41 offset1:1
	ds_write_b32 v16, v39 offset:8
	s_and_saveexec_b64 s[6:7], s[2:3]
	s_xor_b64 s[2:3], exec, s[6:7]
; %bb.13:
                                        ; implicit-def: $vgpr5
                                        ; implicit-def: $vgpr9
; %bb.14:
	s_or_saveexec_b64 s[2:3], s[2:3]
	v_fmac_f32_e32 v8, 0xbf5db3d7, v51
	s_xor_b64 exec, exec, s[2:3]
	s_cbranch_execz .LBB0_16
; %bb.15:
	v_lshl_add_u32 v5, v5, 2, v9
	v_mov_b32_e32 v10, v7
	ds_write2_b32 v5, v7, v8 offset0:27 offset1:28
	ds_write_b32 v5, v6 offset:116
.LBB0_16:
	s_or_b64 exec, exec, s[2:3]
	v_lshlrev_b32_e32 v10, 3, v4
	v_lshlrev_b32_e32 v26, 2, v4
	v_sub_u32_e32 v10, v34, v10
	v_add3_u32 v5, 0, v3, v26
	v_add_u32_e32 v22, v10, v3
	s_waitcnt lgkmcnt(0)
	; wave barrier
	s_waitcnt lgkmcnt(0)
	ds_read_b32 v9, v5
	ds_read2_b32 v[40:41], v22 offset0:30 offset1:39
	ds_read2_b32 v[36:37], v22 offset0:48 offset1:60
	;; [unrolled: 1-line block ×4, first 2 shown]
	v_add_u32_e32 v18, 0x6c, v44
	s_and_saveexec_b64 s[2:3], s[0:1]
	s_cbranch_execz .LBB0_18
; %bb.17:
	ds_read2_b32 v[58:59], v22 offset0:27 offset1:57
	ds_read_b32 v6, v22 offset:348
	s_waitcnt lgkmcnt(1)
	v_mov_b32_e32 v8, v59
	v_mov_b32_e32 v7, v58
.LBB0_18:
	s_or_b64 exec, exec, s[2:3]
	v_mul_f32_e32 v57, 0.5, v57
	v_mov_b32_e32 v56, v33
	v_pk_add_f32 v[32:33], v[28:29], v[56:57] op_sel:[1,0]
	v_pk_add_f32 v[28:29], v[28:29], v[56:57] op_sel:[1,0] neg_lo:[0,1] neg_hi:[0,1]
	v_mul_f32_e32 v57, 0x3f5db3d7, v52
	v_mov_b32_e32 v33, v29
	v_mov_b32_e32 v56, v31
	v_pk_add_f32 v[30:31], v[56:57], v[32:33]
	v_mul_f32_e32 v33, 0.5, v55
	v_mov_b32_e32 v32, v27
	v_fmac_f32_e32 v29, 0xbf5db3d7, v52
	v_pk_add_f32 v[52:53], v[24:25], v[32:33] op_sel:[1,0]
	v_pk_add_f32 v[24:25], v[24:25], v[32:33] op_sel:[1,0] neg_lo:[0,1] neg_hi:[0,1]
	v_mul_f32_e32 v33, 0x3f5db3d7, v46
	v_mov_b32_e32 v53, v25
	v_fmac_f32_e32 v25, 0xbf5db3d7, v46
	v_mul_f32_e32 v47, 0.5, v49
	v_mov_b32_e32 v46, v15
	v_pk_add_f32 v[14:15], v[12:13], v[46:47] op_sel:[1,0]
	v_pk_add_f32 v[12:13], v[12:13], v[46:47] op_sel:[1,0] neg_lo:[0,1] neg_hi:[0,1]
	v_mul_f32_e32 v47, 0x3f5db3d7, v42
	v_mov_b32_e32 v15, v13
	v_mov_b32_e32 v46, v11
	v_mul_f32_e32 v11, 0.5, v45
	v_mov_b32_e32 v10, v23
	v_pk_add_f32 v[46:47], v[46:47], v[14:15]
	v_pk_add_f32 v[14:15], v[20:21], v[10:11] op_sel:[1,0] neg_lo:[0,1] neg_hi:[0,1]
	v_pk_add_f32 v[10:11], v[20:21], v[10:11] op_sel:[1,0]
	v_mul_f32_e32 v21, 0x3f5db3d7, v50
	v_mov_b32_e32 v11, v15
	v_mov_b32_e32 v20, v17
	;; [unrolled: 1-line block ×3, first 2 shown]
	v_pk_add_f32 v[10:11], v[20:21], v[10:11]
	v_fmac_f32_e32 v15, 0xbf5db3d7, v50
	v_add_u32_e32 v14, 27, v4
	v_pk_add_f32 v[32:33], v[32:33], v[52:53]
	v_fmac_f32_e32 v13, 0xbf5db3d7, v42
	s_waitcnt lgkmcnt(0)
	; wave barrier
	s_waitcnt lgkmcnt(0)
	ds_write2_b32 v44, v30, v31 offset1:1
	ds_write_b32 v44, v29 offset:8
	ds_write2_b32 v18, v32, v33 offset1:1
	ds_write_b32 v18, v25 offset:8
	;; [unrolled: 2-line block ×3, first 2 shown]
	s_and_saveexec_b64 s[2:3], s[0:1]
	s_cbranch_execz .LBB0_20
; %bb.19:
	v_mul_u32_u24_e32 v12, 12, v14
	v_add3_u32 v12, 0, v12, v3
	ds_write2_b32 v12, v10, v11 offset1:1
	ds_write_b32 v12, v15 offset:8
.LBB0_20:
	s_or_b64 exec, exec, s[2:3]
	s_waitcnt lgkmcnt(0)
	; wave barrier
	s_waitcnt lgkmcnt(0)
	ds_read_b32 v23, v5
	ds_read2_b32 v[20:21], v22 offset0:30 offset1:39
	ds_read2_b32 v[16:17], v22 offset0:48 offset1:60
	;; [unrolled: 1-line block ×4, first 2 shown]
	s_and_saveexec_b64 s[2:3], s[0:1]
	s_cbranch_execz .LBB0_22
; %bb.21:
	ds_read2_b32 v[10:11], v22 offset0:27 offset1:57
	ds_read_b32 v15, v22 offset:348
.LBB0_22:
	s_or_b64 exec, exec, s[2:3]
	s_movk_i32 s2, 0xab
	v_mul_lo_u16_sdwa v24, v4, s2 dst_sel:DWORD dst_unused:UNUSED_PAD src0_sel:BYTE_0 src1_sel:DWORD
	v_add_u16_e32 v29, 9, v4
	v_lshrrev_b16_e32 v25, 9, v24
	v_mul_lo_u16_sdwa v30, v29, s2 dst_sel:DWORD dst_unused:UNUSED_PAD src0_sel:BYTE_0 src1_sel:DWORD
	v_mul_lo_u16_e32 v24, 3, v25
	v_lshrrev_b16_e32 v30, 9, v30
	v_sub_u16_e32 v27, v4, v24
	v_mov_b32_e32 v28, 4
	v_mul_lo_u16_e32 v31, 3, v30
	v_lshlrev_b32_sdwa v24, v28, v27 dst_sel:DWORD dst_unused:UNUSED_PAD src0_sel:DWORD src1_sel:BYTE_0
	v_sub_u16_e32 v29, v29, v31
	v_lshlrev_b32_sdwa v31, v28, v29 dst_sel:DWORD dst_unused:UNUSED_PAD src0_sel:DWORD src1_sel:BYTE_0
	global_load_dwordx4 v[44:47], v24, s[4:5]
	global_load_dwordx4 v[48:51], v31, s[4:5]
	v_add_u16_e32 v24, 18, v4
	v_mul_lo_u16_sdwa v31, v24, s2 dst_sel:DWORD dst_unused:UNUSED_PAD src0_sel:BYTE_0 src1_sel:DWORD
	v_lshrrev_b16_e32 v60, 9, v31
	v_mul_lo_u16_e32 v31, 3, v60
	v_sub_u16_e32 v61, v24, v31
	v_lshlrev_b32_sdwa v24, v28, v61 dst_sel:DWORD dst_unused:UNUSED_PAD src0_sel:DWORD src1_sel:BYTE_0
	global_load_dwordx4 v[52:55], v24, s[4:5]
	v_mul_lo_u16_sdwa v24, v14, s2 dst_sel:DWORD dst_unused:UNUSED_PAD src0_sel:BYTE_0 src1_sel:DWORD
	v_lshrrev_b16_e32 v24, 9, v24
	v_mul_lo_u16_e32 v24, 3, v24
	v_sub_u16_e32 v24, v14, v24
	v_lshlrev_b32_sdwa v14, v28, v24 dst_sel:DWORD dst_unused:UNUSED_PAD src0_sel:DWORD src1_sel:BYTE_0
	global_load_dwordx4 v[56:59], v14, s[4:5]
	v_mov_b32_e32 v43, 2
	v_mad_u32_u24 v14, v25, 36, 0
	v_mad_u32_u24 v25, v30, 36, 0
	v_lshlrev_b32_sdwa v28, v43, v29 dst_sel:DWORD dst_unused:UNUSED_PAD src0_sel:DWORD src1_sel:BYTE_0
	v_add3_u32 v25, v25, v28, v3
	v_lshlrev_b32_sdwa v27, v43, v27 dst_sel:DWORD dst_unused:UNUSED_PAD src0_sel:DWORD src1_sel:BYTE_0
	v_add3_u32 v27, v14, v27, v3
	s_waitcnt lgkmcnt(0)
	; wave barrier
	s_waitcnt vmcnt(3) lgkmcnt(0)
	v_mul_f32_e32 v33, v20, v45
	v_mul_f32_e32 v28, v40, v45
	;; [unrolled: 1-line block ×4, first 2 shown]
	s_waitcnt vmcnt(2)
	v_mul_f32_e32 v31, v21, v49
	v_mul_f32_e32 v32, v18, v51
	v_fmac_f32_e32 v33, v40, v44
	v_fma_f32 v40, v20, v44, -v28
	v_fmac_f32_e32 v42, v37, v46
	v_mul_f32_e32 v45, v41, v49
	v_mul_f32_e32 v47, v38, v51
	s_waitcnt vmcnt(1)
	v_mul_f32_e32 v14, v16, v53
	v_mul_f32_e32 v30, v19, v55
	;; [unrolled: 1-line block ×3, first 2 shown]
	s_waitcnt vmcnt(0)
	v_mul_f32_e32 v20, v11, v57
	v_fma_f32 v44, v17, v46, -v29
	v_mul_f32_e32 v29, v8, v57
	v_mul_f32_e32 v28, v15, v59
	;; [unrolled: 1-line block ×3, first 2 shown]
	v_fmac_f32_e32 v31, v41, v48
	v_fmac_f32_e32 v32, v38, v50
	;; [unrolled: 1-line block ×3, first 2 shown]
	v_add_f32_e32 v8, v33, v42
	v_mul_f32_e32 v49, v36, v53
	v_fma_f32 v37, v21, v48, -v45
	v_fma_f32 v18, v18, v50, -v47
	v_fmac_f32_e32 v14, v36, v52
	v_fmac_f32_e32 v30, v39, v54
	v_fma_f32 v17, v19, v54, -v51
	v_fma_f32 v21, v11, v56, -v29
	v_fmac_f32_e32 v28, v6, v58
	v_fma_f32 v29, v15, v58, -v46
	v_add_f32_e32 v6, v9, v33
	v_sub_f32_e32 v11, v40, v44
	v_add_f32_e32 v15, v34, v31
	v_add_f32_e32 v19, v31, v32
	v_fmac_f32_e32 v9, -0.5, v8
	v_fma_f32 v16, v16, v52, -v49
	v_sub_f32_e32 v36, v37, v18
	v_add_f32_e32 v39, v14, v30
	v_add_f32_e32 v6, v6, v42
	;; [unrolled: 1-line block ×3, first 2 shown]
	v_fma_f32 v15, -0.5, v19, v34
	v_fmamk_f32 v34, v11, 0xbf5db3d7, v9
	v_add_f32_e32 v38, v35, v14
	v_sub_f32_e32 v41, v16, v17
	v_fmac_f32_e32 v35, -0.5, v39
	v_fmac_f32_e32 v9, 0x3f5db3d7, v11
	v_fmamk_f32 v11, v36, 0xbf5db3d7, v15
	v_fmac_f32_e32 v15, 0x3f5db3d7, v36
	ds_write2_b32 v27, v6, v34 offset1:3
	ds_write_b32 v27, v9 offset:24
	ds_write2_b32 v25, v8, v11 offset1:3
	ds_write_b32 v25, v15 offset:24
	v_mad_u32_u24 v6, v60, 36, 0
	v_lshlrev_b32_sdwa v8, v43, v61 dst_sel:DWORD dst_unused:UNUSED_PAD src0_sel:DWORD src1_sel:BYTE_0
	v_add_f32_e32 v19, v38, v30
	v_fmamk_f32 v36, v41, 0xbf5db3d7, v35
	v_add3_u32 v34, v6, v8, v3
	v_fmac_f32_e32 v35, 0x3f5db3d7, v41
	ds_write2_b32 v34, v19, v36 offset1:3
	ds_write_b32 v34, v35 offset:24
	s_and_saveexec_b64 s[2:3], s[0:1]
	s_cbranch_execz .LBB0_24
; %bb.23:
	v_add_f32_e32 v8, v20, v28
	v_lshlrev_b32_sdwa v6, v43, v24 dst_sel:DWORD dst_unused:UNUSED_PAD src0_sel:DWORD src1_sel:BYTE_0
	v_fma_f32 v8, -0.5, v8, v7
	v_sub_f32_e32 v9, v21, v29
	v_add_f32_e32 v7, v7, v20
	v_add3_u32 v6, 0, v6, v3
	v_fmamk_f32 v11, v9, 0x3f5db3d7, v8
	v_fmac_f32_e32 v8, 0xbf5db3d7, v9
	v_add_f32_e32 v7, v7, v28
	ds_write2_b32 v6, v7, v8 offset0:81 offset1:84
	ds_write_b32 v6, v11 offset:348
.LBB0_24:
	s_or_b64 exec, exec, s[2:3]
	v_add_f32_e32 v6, v23, v40
	v_add_f32_e32 v7, v6, v44
	;; [unrolled: 1-line block ×3, first 2 shown]
	v_fmac_f32_e32 v23, -0.5, v6
	v_sub_f32_e32 v6, v33, v42
	v_fmamk_f32 v33, v6, 0x3f5db3d7, v23
	v_fmac_f32_e32 v23, 0xbf5db3d7, v6
	v_add_f32_e32 v6, v12, v37
	v_add_f32_e32 v35, v6, v18
	;; [unrolled: 1-line block ×3, first 2 shown]
	v_fma_f32 v36, -0.5, v6, v12
	v_sub_f32_e32 v6, v31, v32
	v_fmamk_f32 v31, v6, 0x3f5db3d7, v36
	v_fmac_f32_e32 v36, 0xbf5db3d7, v6
	v_add_f32_e32 v6, v13, v16
	v_add_f32_e32 v32, v6, v17
	;; [unrolled: 1-line block ×3, first 2 shown]
	v_fmac_f32_e32 v13, -0.5, v6
	v_sub_f32_e32 v6, v14, v30
	v_add3_u32 v11, 0, v26, v3
	v_fmamk_f32 v30, v6, 0x3f5db3d7, v13
	v_fmac_f32_e32 v13, 0xbf5db3d7, v6
	s_waitcnt lgkmcnt(0)
	; wave barrier
	s_waitcnt lgkmcnt(0)
	ds_read2_b32 v[8:9], v22 offset0:9 offset1:18
	ds_read2_b32 v[14:15], v11 offset0:27 offset1:36
	;; [unrolled: 1-line block ×4, first 2 shown]
	ds_read_b32 v6, v5
	ds_read_b32 v12, v11 offset:324
	s_waitcnt lgkmcnt(0)
	; wave barrier
	s_waitcnt lgkmcnt(0)
	ds_write2_b32 v27, v7, v33 offset1:3
	ds_write_b32 v27, v23 offset:24
	ds_write2_b32 v25, v35, v31 offset1:3
	ds_write_b32 v25, v36 offset:24
	;; [unrolled: 2-line block ×3, first 2 shown]
	s_and_saveexec_b64 s[2:3], s[0:1]
	s_cbranch_execz .LBB0_26
; %bb.25:
	v_add_f32_e32 v13, v21, v29
	v_add_f32_e32 v7, v10, v21
	v_fmac_f32_e32 v10, -0.5, v13
	v_sub_f32_e32 v13, v20, v28
	v_fmamk_f32 v20, v13, 0x3f5db3d7, v10
	v_fmamk_f32 v10, v13, 0xbf5db3d7, v10
	v_mov_b32_e32 v13, 2
	v_lshlrev_b32_sdwa v13, v13, v24 dst_sel:DWORD dst_unused:UNUSED_PAD src0_sel:DWORD src1_sel:BYTE_0
	v_add_f32_e32 v7, v7, v29
	v_add3_u32 v3, 0, v13, v3
	ds_write2_b32 v3, v7, v20 offset0:81 offset1:84
	ds_write_b32 v3, v10 offset:348
.LBB0_26:
	s_or_b64 exec, exec, s[2:3]
	s_waitcnt lgkmcnt(0)
	; wave barrier
	s_waitcnt lgkmcnt(0)
	s_and_saveexec_b64 s[0:1], vcc
	s_cbranch_execz .LBB0_28
; %bb.27:
	v_mul_u32_u24_e32 v3, 9, v4
	v_lshlrev_b32_e32 v3, 3, v3
	global_load_dwordx4 v[24:27], v3, s[4:5] offset:48
	global_load_dwordx4 v[28:31], v3, s[4:5] offset:64
	global_load_dwordx4 v[32:35], v3, s[4:5] offset:96
	global_load_dwordx4 v[36:39], v3, s[4:5] offset:80
	global_load_dwordx2 v[20:21], v3, s[4:5] offset:112
	v_mov_b32_e32 v3, 0
	ds_read2_b32 v[22:23], v22 offset0:9 offset1:18
	ds_read2_b32 v[40:41], v11 offset0:27 offset1:36
	;; [unrolled: 1-line block ×4, first 2 shown]
	ds_read_b32 v7, v5
	ds_read_b32 v4, v11 offset:324
	v_lshl_add_u64 v[0:1], v[2:3], 3, v[0:1]
	s_waitcnt lgkmcnt(5)
	v_mov_b32_e32 v2, v23
	v_mov_b32_e32 v10, v9
	;; [unrolled: 1-line block ×9, first 2 shown]
	s_mov_b32 s0, 0x3e9e377a
	s_mov_b32 s1, 0x3f167918
	;; [unrolled: 1-line block ×8, first 2 shown]
	s_waitcnt vmcnt(4)
	v_pk_mul_f32 v[2:3], v[2:3], v[26:27] op_sel_hi:[0,1]
	v_pk_fma_f32 v[10:11], v[10:11], v[26:27], v[2:3] op_sel:[0,0,1] op_sel_hi:[1,1,0]
	v_pk_fma_f32 v[2:3], v[46:47], v[26:27], v[2:3] op_sel:[0,0,1] op_sel_hi:[0,1,0] neg_lo:[1,0,0] neg_hi:[1,0,0]
	s_waitcnt lgkmcnt(4)
	v_mov_b32_e32 v2, v41
	s_waitcnt vmcnt(3)
	v_pk_mul_f32 v[26:27], v[2:3], v[30:31] op_sel_hi:[0,1]
	s_waitcnt lgkmcnt(3)
	v_mov_b32_e32 v2, v43
	v_pk_fma_f32 v[46:47], v[48:49], v[30:31], v[26:27] op_sel:[0,0,1] op_sel_hi:[1,1,0]
	v_pk_fma_f32 v[26:27], v[50:51], v[30:31], v[26:27] op_sel:[0,0,1] op_sel_hi:[0,1,0] neg_lo:[1,0,0] neg_hi:[1,0,0]
	s_waitcnt vmcnt(2)
	v_pk_mul_f32 v[30:31], v[2:3], v[34:35] op_sel_hi:[0,1]
	s_waitcnt lgkmcnt(2)
	v_mov_b32_e32 v2, v45
	v_pk_fma_f32 v[48:49], v[52:53], v[34:35], v[30:31] op_sel:[0,0,1] op_sel_hi:[1,1,0]
	v_pk_fma_f32 v[30:31], v[54:55], v[34:35], v[30:31] op_sel:[0,0,1] op_sel_hi:[0,1,0] neg_lo:[1,0,0] neg_hi:[1,0,0]
	s_waitcnt vmcnt(1)
	v_pk_mul_f32 v[34:35], v[2:3], v[38:39] op_sel_hi:[0,1]
	v_pk_mul_f32 v[40:41], v[40:41], v[28:29] op_sel_hi:[0,1]
	;; [unrolled: 1-line block ×3, first 2 shown]
	s_waitcnt vmcnt(0) lgkmcnt(0)
	v_pk_mul_f32 v[4:5], v[4:5], v[20:21] op_sel_hi:[0,1]
	v_pk_mul_f32 v[42:43], v[42:43], v[32:33] op_sel_hi:[0,1]
	;; [unrolled: 1-line block ×3, first 2 shown]
	v_pk_fma_f32 v[50:51], v[56:57], v[38:39], v[34:35] op_sel:[0,0,1] op_sel_hi:[1,1,0]
	v_pk_fma_f32 v[34:35], v[58:59], v[38:39], v[34:35] op_sel:[0,0,1] op_sel_hi:[0,1,0] neg_lo:[1,0,0] neg_hi:[1,0,0]
	v_pk_fma_f32 v[38:39], v[14:15], v[28:29], v[40:41] op_sel:[0,0,1] op_sel_hi:[1,1,0]
	v_pk_fma_f32 v[14:15], v[14:15], v[28:29], v[40:41] op_sel:[0,0,1] op_sel_hi:[0,1,0] neg_lo:[1,0,0] neg_hi:[1,0,0]
	;; [unrolled: 2-line block ×6, first 2 shown]
	v_mov_b32_e32 v11, v3
	v_mov_b32_e32 v2, v38
	v_mov_b32_e32 v3, v36
	v_mov_b32_e32 v22, v28
	v_mov_b32_e32 v23, v12
	v_mov_b32_e32 v4, v15
	v_mov_b32_e32 v16, v19
	v_mov_b32_e32 v49, v31
	v_mov_b32_e32 v39, v15
	v_mov_b32_e32 v29, v19
	v_mov_b32_e32 v37, v5
	v_mov_b32_e32 v13, v17
	v_pk_add_f32 v[14:15], v[2:3], v[22:23] neg_lo:[0,1] neg_hi:[0,1]
	v_pk_add_f32 v[30:31], v[4:5], v[16:17] neg_lo:[0,1] neg_hi:[0,1]
	;; [unrolled: 1-line block ×4, first 2 shown]
	v_pk_add_f32 v[18:19], v[28:29], v[12:13]
	v_mov_b32_e32 v22, v3
	v_mov_b32_e32 v16, v5
	;; [unrolled: 1-line block ×3, first 2 shown]
	v_pk_add_f32 v[24:25], v[38:39], v[36:37] neg_lo:[0,1] neg_hi:[0,1]
	v_mov_b32_e32 v8, v15
	v_fma_f32 v32, -0.5, v18, v20
	v_mov_b32_e32 v18, v31
	v_fma_f32 v33, -0.5, v19, v9
	v_pk_add_f32 v[2:3], v[2:3], v[22:23]
	v_pk_add_f32 v[4:5], v[4:5], v[16:17]
	v_mov_b32_e32 v47, v27
	v_pk_add_f32 v[14:15], v[14:15], v[8:9]
	v_fmamk_f32 v8, v25, 0x3f737871, v32
	v_pk_add_f32 v[18:19], v[30:31], v[18:19]
	v_fmamk_f32 v30, v24, 0xbf737871, v33
	v_mov_b32_e32 v3, v25
	v_pk_add_f32 v[22:23], v[38:39], v[36:37]
	v_mov_b32_e32 v31, v20
	v_mov_b32_e32 v5, v24
	v_fmac_f32_e32 v32, 0xbf737871, v25
	v_fmac_f32_e32 v33, 0x3f737871, v24
	v_pk_add_f32 v[24:25], v[6:7], v[10:11]
	v_pk_add_f32 v[20:21], v[38:39], v[20:21]
	v_mov_b32_e32 v51, v35
	v_pk_add_f32 v[26:27], v[28:29], v[12:13] neg_lo:[0,1] neg_hi:[0,1]
	v_fmac_f32_e32 v31, -0.5, v22
	v_pk_add_f32 v[24:25], v[24:25], v[46:47]
	v_pk_add_f32 v[20:21], v[28:29], v[20:21]
	v_pk_mul_f32 v[2:3], v[2:3], s[0:1]
	v_fmamk_f32 v22, v27, 0xbf737871, v31
	v_fmac_f32_e32 v9, -0.5, v23
	v_fmac_f32_e32 v31, 0x3f737871, v27
	v_pk_add_f32 v[24:25], v[24:25], v[50:51]
	v_pk_add_f32 v[12:13], v[12:13], v[20:21]
	v_mov_b32_e32 v15, v27
	v_add_f32_e32 v22, v3, v22
	v_fmamk_f32 v16, v26, 0x3f737871, v9
	v_pk_mul_f32 v[4:5], v[4:5], s[0:1]
	v_sub_f32_e32 v3, v31, v3
	v_fmac_f32_e32 v9, 0xbf737871, v26
	v_pk_add_f32 v[24:25], v[48:49], v[24:25]
	v_pk_add_f32 v[12:13], v[36:37], v[12:13]
	v_mov_b32_e32 v19, v26
	v_pk_mul_f32 v[14:15], v[14:15], s[0:1]
	v_add_f32_e32 v22, v2, v22
	v_sub_f32_e32 v16, v16, v5
	v_add_f32_e32 v2, v2, v3
	v_add_f32_e32 v3, v5, v9
	v_pk_add_f32 v[20:21], v[24:25], v[12:13]
	v_pk_mul_f32 v[18:19], v[18:19], s[0:1]
	v_add_f32_e32 v8, v15, v8
	v_add_f32_e32 v16, v4, v16
	;; [unrolled: 1-line block ×3, first 2 shown]
	v_sub_f32_e32 v3, v32, v15
	global_store_dwordx2 v[0:1], v[20:21], off
	v_pk_add_f32 v[20:21], v[46:47], v[50:51]
	v_pk_add_f32 v[26:27], v[10:11], v[48:49] neg_lo:[0,1] neg_hi:[0,1]
	v_sub_f32_e32 v30, v30, v19
	v_add_f32_e32 v8, v14, v8
	v_add_f32_e32 v14, v14, v3
	;; [unrolled: 1-line block ×3, first 2 shown]
	v_pk_fma_f32 v[20:21], v[20:21], 0.5, v[6:7] op_sel_hi:[1,0,1] neg_lo:[1,0,0] neg_hi:[1,0,0]
	v_pk_mul_f32 v[28:29], v[26:27], s[2:3] op_sel_hi:[1,0]
	v_pk_add_f32 v[32:33], v[46:47], v[50:51] neg_lo:[0,1] neg_hi:[0,1]
	v_pk_add_f32 v[36:37], v[10:11], v[46:47] neg_lo:[0,1] neg_hi:[0,1]
	;; [unrolled: 1-line block ×3, first 2 shown]
	v_add_f32_e32 v30, v18, v30
	v_add_f32_e32 v18, v18, v3
	v_pk_mul_f32 v[34:35], v[32:33], s[4:5] op_sel_hi:[1,0]
	v_pk_add_f32 v[36:37], v[36:37], v[38:39]
	v_pk_add_f32 v[38:39], v[20:21], v[28:29] op_sel:[0,1] op_sel_hi:[1,0] neg_lo:[0,1] neg_hi:[0,1]
	v_pk_add_f32 v[20:21], v[20:21], v[28:29] op_sel:[0,1] op_sel_hi:[1,0]
	v_pk_add_f32 v[28:29], v[38:39], v[34:35] op_sel:[0,1] op_sel_hi:[1,0] neg_lo:[0,1] neg_hi:[0,1]
	v_pk_add_f32 v[20:21], v[20:21], v[34:35] op_sel:[0,1] op_sel_hi:[1,0]
	v_pk_mul_f32 v[18:19], v[18:19], s[8:9] op_sel_hi:[0,1]
	v_mov_b32_e32 v34, v28
	v_mov_b32_e32 v35, v21
	v_pk_fma_f32 v[38:39], v[14:15], s[6:7], v[18:19] neg_lo:[0,0,1] neg_hi:[0,0,1]
	v_pk_fma_f32 v[14:15], v[14:15], s[6:7], v[18:19] op_sel_hi:[0,1,1]
	v_pk_fma_f32 v[34:35], v[36:37], s[0:1], v[34:35] op_sel_hi:[1,0,1]
	v_mov_b32_e32 v39, v15
	v_pk_add_f32 v[14:15], v[34:35], v[38:39]
	s_mov_b32 s3, s0
	global_store_dwordx2 v[0:1], v[14:15], off offset:72
	v_pk_add_f32 v[14:15], v[46:47], v[10:11] neg_lo:[0,1] neg_hi:[0,1]
	v_pk_add_f32 v[10:11], v[10:11], v[48:49]
	s_mov_b32 s6, s0
	s_mov_b32 s7, s2
	v_pk_mul_f32 v[4:5], v[4:5], s[2:3] op_sel_hi:[0,1]
	v_pk_fma_f32 v[6:7], v[10:11], 0.5, v[6:7] op_sel_hi:[1,0,1] neg_lo:[1,0,0] neg_hi:[1,0,0]
	v_pk_fma_f32 v[10:11], v[2:3], s[6:7], v[4:5] neg_lo:[0,0,1] neg_hi:[0,0,1]
	v_pk_fma_f32 v[2:3], v[2:3], s[6:7], v[4:5] op_sel_hi:[0,1,1]
	v_pk_add_f32 v[18:19], v[50:51], v[48:49] neg_lo:[0,1] neg_hi:[0,1]
	v_mov_b32_e32 v11, v3
	v_pk_mul_f32 v[2:3], v[32:33], s[2:3] op_sel_hi:[1,0]
	v_pk_add_f32 v[14:15], v[14:15], v[18:19]
	v_pk_mul_f32 v[4:5], v[26:27], s[4:5] op_sel_hi:[1,0]
	v_pk_add_f32 v[18:19], v[6:7], v[2:3] op_sel:[0,1] op_sel_hi:[1,0]
	v_pk_add_f32 v[2:3], v[6:7], v[2:3] op_sel:[0,1] op_sel_hi:[1,0] neg_lo:[0,1] neg_hi:[0,1]
	s_mov_b32 s4, 0xbe9e377a
	v_pk_add_f32 v[2:3], v[2:3], v[4:5] op_sel:[0,1] op_sel_hi:[1,0]
	v_pk_add_f32 v[4:5], v[18:19], v[4:5] op_sel:[0,1] op_sel_hi:[1,0] neg_lo:[0,1] neg_hi:[0,1]
	v_mov_b32_e32 v7, v3
	s_mov_b32 s5, s2
	v_pk_mul_f32 v[16:17], v[16:17], s[2:3] op_sel_hi:[0,1]
	v_mov_b32_e32 v3, v5
	v_pk_fma_f32 v[16:17], v[22:23], s[4:5], v[16:17] op_sel_hi:[0,1,1] neg_lo:[0,0,1] neg_hi:[0,0,1]
	v_pk_fma_f32 v[2:3], v[14:15], s[0:1], v[2:3] op_sel_hi:[1,0,1]
	v_mov_b32_e32 v6, v4
	v_pk_add_f32 v[4:5], v[2:3], v[16:17]
	global_store_dwordx2 v[0:1], v[4:5], off offset:216
	s_mov_b32 s2, 0xbf4f1bbd
	s_mov_b32 s3, s1
	v_pk_mul_f32 v[4:5], v[30:31], s[8:9] op_sel_hi:[0,1]
	v_mov_b32_e32 v21, v29
	v_pk_fma_f32 v[6:7], v[14:15], s[0:1], v[6:7] op_sel_hi:[1,0,1]
	v_pk_fma_f32 v[4:5], v[8:9], s[2:3], v[4:5] op_sel_hi:[0,1,1] neg_lo:[0,0,1] neg_hi:[0,0,1]
	v_pk_fma_f32 v[8:9], v[36:37], s[0:1], v[20:21] op_sel_hi:[1,0,1]
	v_pk_add_f32 v[12:13], v[24:25], v[12:13] neg_lo:[0,1] neg_hi:[0,1]
	v_pk_add_f32 v[2:3], v[2:3], v[16:17] neg_lo:[0,1] neg_hi:[0,1]
	v_pk_add_f32 v[18:19], v[6:7], v[10:11]
	v_pk_add_f32 v[14:15], v[8:9], v[4:5]
	global_store_dwordx2 v[0:1], v[12:13], off offset:360
	v_pk_add_f32 v[12:13], v[34:35], v[38:39] neg_lo:[0,1] neg_hi:[0,1]
	v_pk_add_f32 v[6:7], v[6:7], v[10:11] neg_lo:[0,1] neg_hi:[0,1]
	global_store_dwordx2 v[0:1], v[2:3], off offset:576
	v_pk_add_f32 v[2:3], v[8:9], v[4:5] neg_lo:[0,1] neg_hi:[0,1]
	global_store_dwordx2 v[0:1], v[18:19], off offset:144
	global_store_dwordx2 v[0:1], v[14:15], off offset:288
	;; [unrolled: 1-line block ×5, first 2 shown]
.LBB0_28:
	s_endpgm
	.section	.rodata,"a",@progbits
	.p2align	6, 0x0
	.amdhsa_kernel fft_rtc_back_len90_factors_3_3_10_wgs_63_tpt_9_halfLds_sp_ip_CI_unitstride_sbrr_dirReg
		.amdhsa_group_segment_fixed_size 0
		.amdhsa_private_segment_fixed_size 0
		.amdhsa_kernarg_size 88
		.amdhsa_user_sgpr_count 2
		.amdhsa_user_sgpr_dispatch_ptr 0
		.amdhsa_user_sgpr_queue_ptr 0
		.amdhsa_user_sgpr_kernarg_segment_ptr 1
		.amdhsa_user_sgpr_dispatch_id 0
		.amdhsa_user_sgpr_kernarg_preload_length 0
		.amdhsa_user_sgpr_kernarg_preload_offset 0
		.amdhsa_user_sgpr_private_segment_size 0
		.amdhsa_uses_dynamic_stack 0
		.amdhsa_enable_private_segment 0
		.amdhsa_system_sgpr_workgroup_id_x 1
		.amdhsa_system_sgpr_workgroup_id_y 0
		.amdhsa_system_sgpr_workgroup_id_z 0
		.amdhsa_system_sgpr_workgroup_info 0
		.amdhsa_system_vgpr_workitem_id 0
		.amdhsa_next_free_vgpr 64
		.amdhsa_next_free_sgpr 22
		.amdhsa_accum_offset 64
		.amdhsa_reserve_vcc 1
		.amdhsa_float_round_mode_32 0
		.amdhsa_float_round_mode_16_64 0
		.amdhsa_float_denorm_mode_32 3
		.amdhsa_float_denorm_mode_16_64 3
		.amdhsa_dx10_clamp 1
		.amdhsa_ieee_mode 1
		.amdhsa_fp16_overflow 0
		.amdhsa_tg_split 0
		.amdhsa_exception_fp_ieee_invalid_op 0
		.amdhsa_exception_fp_denorm_src 0
		.amdhsa_exception_fp_ieee_div_zero 0
		.amdhsa_exception_fp_ieee_overflow 0
		.amdhsa_exception_fp_ieee_underflow 0
		.amdhsa_exception_fp_ieee_inexact 0
		.amdhsa_exception_int_div_zero 0
	.end_amdhsa_kernel
	.text
.Lfunc_end0:
	.size	fft_rtc_back_len90_factors_3_3_10_wgs_63_tpt_9_halfLds_sp_ip_CI_unitstride_sbrr_dirReg, .Lfunc_end0-fft_rtc_back_len90_factors_3_3_10_wgs_63_tpt_9_halfLds_sp_ip_CI_unitstride_sbrr_dirReg
                                        ; -- End function
	.section	.AMDGPU.csdata,"",@progbits
; Kernel info:
; codeLenInByte = 4776
; NumSgprs: 28
; NumVgprs: 64
; NumAgprs: 0
; TotalNumVgprs: 64
; ScratchSize: 0
; MemoryBound: 0
; FloatMode: 240
; IeeeMode: 1
; LDSByteSize: 0 bytes/workgroup (compile time only)
; SGPRBlocks: 3
; VGPRBlocks: 7
; NumSGPRsForWavesPerEU: 28
; NumVGPRsForWavesPerEU: 64
; AccumOffset: 64
; Occupancy: 8
; WaveLimiterHint : 1
; COMPUTE_PGM_RSRC2:SCRATCH_EN: 0
; COMPUTE_PGM_RSRC2:USER_SGPR: 2
; COMPUTE_PGM_RSRC2:TRAP_HANDLER: 0
; COMPUTE_PGM_RSRC2:TGID_X_EN: 1
; COMPUTE_PGM_RSRC2:TGID_Y_EN: 0
; COMPUTE_PGM_RSRC2:TGID_Z_EN: 0
; COMPUTE_PGM_RSRC2:TIDIG_COMP_CNT: 0
; COMPUTE_PGM_RSRC3_GFX90A:ACCUM_OFFSET: 15
; COMPUTE_PGM_RSRC3_GFX90A:TG_SPLIT: 0
	.text
	.p2alignl 6, 3212836864
	.fill 256, 4, 3212836864
	.type	__hip_cuid_70a5237f3a1afbb2,@object ; @__hip_cuid_70a5237f3a1afbb2
	.section	.bss,"aw",@nobits
	.globl	__hip_cuid_70a5237f3a1afbb2
__hip_cuid_70a5237f3a1afbb2:
	.byte	0                               ; 0x0
	.size	__hip_cuid_70a5237f3a1afbb2, 1

	.ident	"AMD clang version 19.0.0git (https://github.com/RadeonOpenCompute/llvm-project roc-6.4.0 25133 c7fe45cf4b819c5991fe208aaa96edf142730f1d)"
	.section	".note.GNU-stack","",@progbits
	.addrsig
	.addrsig_sym __hip_cuid_70a5237f3a1afbb2
	.amdgpu_metadata
---
amdhsa.kernels:
  - .agpr_count:     0
    .args:
      - .actual_access:  read_only
        .address_space:  global
        .offset:         0
        .size:           8
        .value_kind:     global_buffer
      - .offset:         8
        .size:           8
        .value_kind:     by_value
      - .actual_access:  read_only
        .address_space:  global
        .offset:         16
        .size:           8
        .value_kind:     global_buffer
      - .actual_access:  read_only
        .address_space:  global
        .offset:         24
        .size:           8
        .value_kind:     global_buffer
      - .offset:         32
        .size:           8
        .value_kind:     by_value
      - .actual_access:  read_only
        .address_space:  global
        .offset:         40
        .size:           8
        .value_kind:     global_buffer
      - .actual_access:  read_only
        .address_space:  global
        .offset:         48
        .size:           8
        .value_kind:     global_buffer
      - .offset:         56
        .size:           4
        .value_kind:     by_value
      - .actual_access:  read_only
        .address_space:  global
        .offset:         64
        .size:           8
        .value_kind:     global_buffer
      - .actual_access:  read_only
        .address_space:  global
        .offset:         72
        .size:           8
        .value_kind:     global_buffer
      - .address_space:  global
        .offset:         80
        .size:           8
        .value_kind:     global_buffer
    .group_segment_fixed_size: 0
    .kernarg_segment_align: 8
    .kernarg_segment_size: 88
    .language:       OpenCL C
    .language_version:
      - 2
      - 0
    .max_flat_workgroup_size: 63
    .name:           fft_rtc_back_len90_factors_3_3_10_wgs_63_tpt_9_halfLds_sp_ip_CI_unitstride_sbrr_dirReg
    .private_segment_fixed_size: 0
    .sgpr_count:     28
    .sgpr_spill_count: 0
    .symbol:         fft_rtc_back_len90_factors_3_3_10_wgs_63_tpt_9_halfLds_sp_ip_CI_unitstride_sbrr_dirReg.kd
    .uniform_work_group_size: 1
    .uses_dynamic_stack: false
    .vgpr_count:     64
    .vgpr_spill_count: 0
    .wavefront_size: 64
amdhsa.target:   amdgcn-amd-amdhsa--gfx950
amdhsa.version:
  - 1
  - 2
...

	.end_amdgpu_metadata
